;; amdgpu-corpus repo=ROCm/rocFFT kind=compiled arch=gfx1201 opt=O3
	.text
	.amdgcn_target "amdgcn-amd-amdhsa--gfx1201"
	.amdhsa_code_object_version 6
	.protected	fft_rtc_back_len780_factors_2_3_13_5_2_wgs_234_tpt_78_halfLds_dp_op_CI_CI_unitstride_sbrr_dirReg ; -- Begin function fft_rtc_back_len780_factors_2_3_13_5_2_wgs_234_tpt_78_halfLds_dp_op_CI_CI_unitstride_sbrr_dirReg
	.globl	fft_rtc_back_len780_factors_2_3_13_5_2_wgs_234_tpt_78_halfLds_dp_op_CI_CI_unitstride_sbrr_dirReg
	.p2align	8
	.type	fft_rtc_back_len780_factors_2_3_13_5_2_wgs_234_tpt_78_halfLds_dp_op_CI_CI_unitstride_sbrr_dirReg,@function
fft_rtc_back_len780_factors_2_3_13_5_2_wgs_234_tpt_78_halfLds_dp_op_CI_CI_unitstride_sbrr_dirReg: ; @fft_rtc_back_len780_factors_2_3_13_5_2_wgs_234_tpt_78_halfLds_dp_op_CI_CI_unitstride_sbrr_dirReg
; %bb.0:
	s_load_b128 s[8:11], s[0:1], 0x0
	v_mul_u32_u24_e32 v1, 0x349, v0
	s_clause 0x1
	s_load_b128 s[4:7], s[0:1], 0x58
	s_load_b128 s[12:15], s[0:1], 0x18
	v_mov_b32_e32 v4, 0
	v_lshrrev_b32_e32 v2, 16, v1
	v_mov_b32_e32 v1, 0
	s_delay_alu instid0(VALU_DEP_2) | instskip(NEXT) | instid1(VALU_DEP_2)
	v_mad_co_u64_u32 v[44:45], null, ttmp9, 3, v[2:3]
	v_mov_b32_e32 v45, v1
	v_mov_b32_e32 v5, 0
	s_delay_alu instid0(VALU_DEP_2) | instskip(SKIP_2) | instid1(VALU_DEP_3)
	v_dual_mov_b32 v65, v45 :: v_dual_mov_b32 v64, v44
	s_wait_kmcnt 0x0
	v_cmp_lt_u64_e64 s2, s[10:11], 2
	v_dual_mov_b32 v61, v5 :: v_dual_mov_b32 v60, v4
	s_delay_alu instid0(VALU_DEP_2)
	s_and_b32 vcc_lo, exec_lo, s2
	s_cbranch_vccnz .LBB0_8
; %bb.1:
	s_load_b64 s[2:3], s[0:1], 0x10
	v_mov_b32_e32 v4, 0
	v_dual_mov_b32 v5, 0 :: v_dual_mov_b32 v6, v44
	v_mov_b32_e32 v7, v45
	s_add_nc_u64 s[16:17], s[14:15], 8
	s_add_nc_u64 s[18:19], s[12:13], 8
	s_delay_alu instid0(VALU_DEP_2)
	v_dual_mov_b32 v61, v5 :: v_dual_mov_b32 v60, v4
	s_mov_b64 s[20:21], 1
	s_wait_kmcnt 0x0
	s_add_nc_u64 s[22:23], s[2:3], 8
	s_mov_b32 s3, 0
.LBB0_2:                                ; =>This Inner Loop Header: Depth=1
	s_load_b64 s[24:25], s[22:23], 0x0
                                        ; implicit-def: $vgpr64_vgpr65
	s_mov_b32 s2, exec_lo
	s_wait_kmcnt 0x0
	v_or_b32_e32 v2, s25, v7
	s_delay_alu instid0(VALU_DEP_1)
	v_cmpx_ne_u64_e32 0, v[1:2]
	s_wait_alu 0xfffe
	s_xor_b32 s26, exec_lo, s2
	s_cbranch_execz .LBB0_4
; %bb.3:                                ;   in Loop: Header=BB0_2 Depth=1
	s_cvt_f32_u32 s2, s24
	s_cvt_f32_u32 s27, s25
	s_sub_nc_u64 s[30:31], 0, s[24:25]
	s_wait_alu 0xfffe
	s_delay_alu instid0(SALU_CYCLE_1) | instskip(SKIP_1) | instid1(SALU_CYCLE_2)
	s_fmamk_f32 s2, s27, 0x4f800000, s2
	s_wait_alu 0xfffe
	v_s_rcp_f32 s2, s2
	s_delay_alu instid0(TRANS32_DEP_1) | instskip(SKIP_1) | instid1(SALU_CYCLE_2)
	s_mul_f32 s2, s2, 0x5f7ffffc
	s_wait_alu 0xfffe
	s_mul_f32 s27, s2, 0x2f800000
	s_wait_alu 0xfffe
	s_delay_alu instid0(SALU_CYCLE_2) | instskip(SKIP_1) | instid1(SALU_CYCLE_2)
	s_trunc_f32 s27, s27
	s_wait_alu 0xfffe
	s_fmamk_f32 s2, s27, 0xcf800000, s2
	s_cvt_u32_f32 s29, s27
	s_wait_alu 0xfffe
	s_delay_alu instid0(SALU_CYCLE_1) | instskip(SKIP_1) | instid1(SALU_CYCLE_2)
	s_cvt_u32_f32 s28, s2
	s_wait_alu 0xfffe
	s_mul_u64 s[34:35], s[30:31], s[28:29]
	s_wait_alu 0xfffe
	s_mul_hi_u32 s37, s28, s35
	s_mul_i32 s36, s28, s35
	s_mul_hi_u32 s2, s28, s34
	s_mul_i32 s33, s29, s34
	s_wait_alu 0xfffe
	s_add_nc_u64 s[36:37], s[2:3], s[36:37]
	s_mul_hi_u32 s27, s29, s34
	s_mul_hi_u32 s38, s29, s35
	s_add_co_u32 s2, s36, s33
	s_wait_alu 0xfffe
	s_add_co_ci_u32 s2, s37, s27
	s_mul_i32 s34, s29, s35
	s_add_co_ci_u32 s35, s38, 0
	s_wait_alu 0xfffe
	s_add_nc_u64 s[34:35], s[2:3], s[34:35]
	s_wait_alu 0xfffe
	v_add_co_u32 v2, s2, s28, s34
	s_delay_alu instid0(VALU_DEP_1) | instskip(SKIP_1) | instid1(VALU_DEP_1)
	s_cmp_lg_u32 s2, 0
	s_add_co_ci_u32 s29, s29, s35
	v_readfirstlane_b32 s28, v2
	s_wait_alu 0xfffe
	s_delay_alu instid0(VALU_DEP_1)
	s_mul_u64 s[30:31], s[30:31], s[28:29]
	s_wait_alu 0xfffe
	s_mul_hi_u32 s35, s28, s31
	s_mul_i32 s34, s28, s31
	s_mul_hi_u32 s2, s28, s30
	s_mul_i32 s33, s29, s30
	s_wait_alu 0xfffe
	s_add_nc_u64 s[34:35], s[2:3], s[34:35]
	s_mul_hi_u32 s27, s29, s30
	s_mul_hi_u32 s28, s29, s31
	s_wait_alu 0xfffe
	s_add_co_u32 s2, s34, s33
	s_add_co_ci_u32 s2, s35, s27
	s_mul_i32 s30, s29, s31
	s_add_co_ci_u32 s31, s28, 0
	s_wait_alu 0xfffe
	s_add_nc_u64 s[30:31], s[2:3], s[30:31]
	s_wait_alu 0xfffe
	v_add_co_u32 v8, s2, v2, s30
	s_delay_alu instid0(VALU_DEP_1) | instskip(SKIP_1) | instid1(VALU_DEP_1)
	s_cmp_lg_u32 s2, 0
	s_add_co_ci_u32 s2, s29, s31
	v_mul_hi_u32 v12, v6, v8
	s_wait_alu 0xfffe
	v_mad_co_u64_u32 v[2:3], null, v6, s2, 0
	v_mad_co_u64_u32 v[8:9], null, v7, v8, 0
	;; [unrolled: 1-line block ×3, first 2 shown]
	s_delay_alu instid0(VALU_DEP_3) | instskip(SKIP_1) | instid1(VALU_DEP_4)
	v_add_co_u32 v2, vcc_lo, v12, v2
	s_wait_alu 0xfffd
	v_add_co_ci_u32_e32 v3, vcc_lo, 0, v3, vcc_lo
	s_delay_alu instid0(VALU_DEP_2) | instskip(SKIP_1) | instid1(VALU_DEP_2)
	v_add_co_u32 v2, vcc_lo, v2, v8
	s_wait_alu 0xfffd
	v_add_co_ci_u32_e32 v2, vcc_lo, v3, v9, vcc_lo
	s_wait_alu 0xfffd
	v_add_co_ci_u32_e32 v3, vcc_lo, 0, v11, vcc_lo
	s_delay_alu instid0(VALU_DEP_2) | instskip(SKIP_1) | instid1(VALU_DEP_2)
	v_add_co_u32 v8, vcc_lo, v2, v10
	s_wait_alu 0xfffd
	v_add_co_ci_u32_e32 v9, vcc_lo, 0, v3, vcc_lo
	s_delay_alu instid0(VALU_DEP_2) | instskip(SKIP_1) | instid1(VALU_DEP_3)
	v_mul_lo_u32 v10, s25, v8
	v_mad_co_u64_u32 v[2:3], null, s24, v8, 0
	v_mul_lo_u32 v11, s24, v9
	s_delay_alu instid0(VALU_DEP_2) | instskip(NEXT) | instid1(VALU_DEP_2)
	v_sub_co_u32 v2, vcc_lo, v6, v2
	v_add3_u32 v3, v3, v11, v10
	s_delay_alu instid0(VALU_DEP_1) | instskip(SKIP_1) | instid1(VALU_DEP_1)
	v_sub_nc_u32_e32 v10, v7, v3
	s_wait_alu 0xfffd
	v_subrev_co_ci_u32_e64 v10, s2, s25, v10, vcc_lo
	v_add_co_u32 v11, s2, v8, 2
	s_wait_alu 0xf1ff
	v_add_co_ci_u32_e64 v12, s2, 0, v9, s2
	v_sub_co_u32 v13, s2, v2, s24
	v_sub_co_ci_u32_e32 v3, vcc_lo, v7, v3, vcc_lo
	s_wait_alu 0xf1ff
	v_subrev_co_ci_u32_e64 v10, s2, 0, v10, s2
	s_delay_alu instid0(VALU_DEP_3) | instskip(NEXT) | instid1(VALU_DEP_3)
	v_cmp_le_u32_e32 vcc_lo, s24, v13
	v_cmp_eq_u32_e64 s2, s25, v3
	s_wait_alu 0xfffd
	v_cndmask_b32_e64 v13, 0, -1, vcc_lo
	v_cmp_le_u32_e32 vcc_lo, s25, v10
	s_wait_alu 0xfffd
	v_cndmask_b32_e64 v14, 0, -1, vcc_lo
	v_cmp_le_u32_e32 vcc_lo, s24, v2
	;; [unrolled: 3-line block ×3, first 2 shown]
	s_wait_alu 0xfffd
	v_cndmask_b32_e64 v15, 0, -1, vcc_lo
	v_cmp_eq_u32_e32 vcc_lo, s25, v10
	s_wait_alu 0xf1ff
	s_delay_alu instid0(VALU_DEP_2)
	v_cndmask_b32_e64 v2, v15, v2, s2
	s_wait_alu 0xfffd
	v_cndmask_b32_e32 v10, v14, v13, vcc_lo
	v_add_co_u32 v13, vcc_lo, v8, 1
	s_wait_alu 0xfffd
	v_add_co_ci_u32_e32 v14, vcc_lo, 0, v9, vcc_lo
	s_delay_alu instid0(VALU_DEP_3) | instskip(SKIP_1) | instid1(VALU_DEP_2)
	v_cmp_ne_u32_e32 vcc_lo, 0, v10
	s_wait_alu 0xfffd
	v_dual_cndmask_b32 v3, v14, v12 :: v_dual_cndmask_b32 v10, v13, v11
	v_cmp_ne_u32_e32 vcc_lo, 0, v2
	s_wait_alu 0xfffd
	s_delay_alu instid0(VALU_DEP_2)
	v_dual_cndmask_b32 v65, v9, v3 :: v_dual_cndmask_b32 v64, v8, v10
.LBB0_4:                                ;   in Loop: Header=BB0_2 Depth=1
	s_wait_alu 0xfffe
	s_and_not1_saveexec_b32 s2, s26
	s_cbranch_execz .LBB0_6
; %bb.5:                                ;   in Loop: Header=BB0_2 Depth=1
	v_cvt_f32_u32_e32 v2, s24
	s_sub_co_i32 s26, 0, s24
	v_mov_b32_e32 v65, v1
	s_delay_alu instid0(VALU_DEP_2) | instskip(NEXT) | instid1(TRANS32_DEP_1)
	v_rcp_iflag_f32_e32 v2, v2
	v_mul_f32_e32 v2, 0x4f7ffffe, v2
	s_delay_alu instid0(VALU_DEP_1) | instskip(SKIP_1) | instid1(VALU_DEP_1)
	v_cvt_u32_f32_e32 v2, v2
	s_wait_alu 0xfffe
	v_mul_lo_u32 v3, s26, v2
	s_delay_alu instid0(VALU_DEP_1) | instskip(NEXT) | instid1(VALU_DEP_1)
	v_mul_hi_u32 v3, v2, v3
	v_add_nc_u32_e32 v2, v2, v3
	s_delay_alu instid0(VALU_DEP_1) | instskip(NEXT) | instid1(VALU_DEP_1)
	v_mul_hi_u32 v2, v6, v2
	v_mul_lo_u32 v3, v2, s24
	v_add_nc_u32_e32 v8, 1, v2
	s_delay_alu instid0(VALU_DEP_2) | instskip(NEXT) | instid1(VALU_DEP_1)
	v_sub_nc_u32_e32 v3, v6, v3
	v_subrev_nc_u32_e32 v9, s24, v3
	v_cmp_le_u32_e32 vcc_lo, s24, v3
	s_wait_alu 0xfffd
	s_delay_alu instid0(VALU_DEP_2) | instskip(NEXT) | instid1(VALU_DEP_1)
	v_dual_cndmask_b32 v3, v3, v9 :: v_dual_cndmask_b32 v2, v2, v8
	v_cmp_le_u32_e32 vcc_lo, s24, v3
	s_delay_alu instid0(VALU_DEP_2) | instskip(SKIP_1) | instid1(VALU_DEP_1)
	v_add_nc_u32_e32 v8, 1, v2
	s_wait_alu 0xfffd
	v_cndmask_b32_e32 v64, v2, v8, vcc_lo
.LBB0_6:                                ;   in Loop: Header=BB0_2 Depth=1
	s_wait_alu 0xfffe
	s_or_b32 exec_lo, exec_lo, s2
	v_mul_lo_u32 v8, v65, s24
	s_delay_alu instid0(VALU_DEP_2)
	v_mul_lo_u32 v9, v64, s25
	s_load_b64 s[26:27], s[18:19], 0x0
	v_mad_co_u64_u32 v[2:3], null, v64, s24, 0
	s_load_b64 s[24:25], s[16:17], 0x0
	s_add_nc_u64 s[20:21], s[20:21], 1
	s_add_nc_u64 s[16:17], s[16:17], 8
	s_wait_alu 0xfffe
	v_cmp_ge_u64_e64 s2, s[20:21], s[10:11]
	s_add_nc_u64 s[18:19], s[18:19], 8
	s_add_nc_u64 s[22:23], s[22:23], 8
	v_add3_u32 v3, v3, v9, v8
	v_sub_co_u32 v2, vcc_lo, v6, v2
	s_wait_alu 0xfffd
	s_delay_alu instid0(VALU_DEP_2) | instskip(SKIP_2) | instid1(VALU_DEP_1)
	v_sub_co_ci_u32_e32 v3, vcc_lo, v7, v3, vcc_lo
	s_and_b32 vcc_lo, exec_lo, s2
	s_wait_kmcnt 0x0
	v_mul_lo_u32 v6, s26, v3
	v_mul_lo_u32 v7, s27, v2
	v_mad_co_u64_u32 v[4:5], null, s26, v2, v[4:5]
	v_mul_lo_u32 v3, s24, v3
	v_mul_lo_u32 v8, s25, v2
	v_mad_co_u64_u32 v[60:61], null, s24, v2, v[60:61]
	s_delay_alu instid0(VALU_DEP_4) | instskip(NEXT) | instid1(VALU_DEP_2)
	v_add3_u32 v5, v7, v5, v6
	v_add3_u32 v61, v8, v61, v3
	s_wait_alu 0xfffe
	s_cbranch_vccnz .LBB0_8
; %bb.7:                                ;   in Loop: Header=BB0_2 Depth=1
	v_dual_mov_b32 v6, v64 :: v_dual_mov_b32 v7, v65
	s_branch .LBB0_2
.LBB0_8:
	s_load_b64 s[0:1], s[0:1], 0x28
	v_mul_hi_u32 v1, 0x3483484, v0
	s_lshl_b64 s[10:11], s[10:11], 3
                                        ; implicit-def: $vgpr62
	s_wait_kmcnt 0x0
	v_cmp_gt_u64_e32 vcc_lo, s[0:1], v[64:65]
	v_cmp_le_u64_e64 s0, s[0:1], v[64:65]
	s_delay_alu instid0(VALU_DEP_1)
	s_and_saveexec_b32 s1, s0
	s_wait_alu 0xfffe
	s_xor_b32 s0, exec_lo, s1
; %bb.9:
	v_mul_u32_u24_e32 v1, 0x4e, v1
                                        ; implicit-def: $vgpr4_vgpr5
	s_delay_alu instid0(VALU_DEP_1)
	v_sub_nc_u32_e32 v62, v0, v1
                                        ; implicit-def: $vgpr1
                                        ; implicit-def: $vgpr0
; %bb.10:
	s_wait_alu 0xfffe
	s_or_saveexec_b32 s1, s0
	s_add_nc_u64 s[2:3], s[14:15], s[10:11]
                                        ; implicit-def: $vgpr42_vgpr43
                                        ; implicit-def: $vgpr30_vgpr31
                                        ; implicit-def: $vgpr34_vgpr35
                                        ; implicit-def: $vgpr22_vgpr23
                                        ; implicit-def: $vgpr26_vgpr27
                                        ; implicit-def: $vgpr18_vgpr19
                                        ; implicit-def: $vgpr14_vgpr15
                                        ; implicit-def: $vgpr10_vgpr11
                                        ; implicit-def: $vgpr38_vgpr39
                                        ; implicit-def: $vgpr2_vgpr3
	s_wait_alu 0xfffe
	s_xor_b32 exec_lo, exec_lo, s1
	s_cbranch_execz .LBB0_12
; %bb.11:
	s_add_nc_u64 s[10:11], s[12:13], s[10:11]
	s_load_b64 s[10:11], s[10:11], 0x0
	s_wait_kmcnt 0x0
	v_mul_lo_u32 v6, s11, v64
	v_mul_lo_u32 v7, s10, v65
	v_mad_co_u64_u32 v[2:3], null, s10, v64, 0
	s_delay_alu instid0(VALU_DEP_1) | instskip(SKIP_1) | instid1(VALU_DEP_2)
	v_add3_u32 v3, v3, v7, v6
	v_mul_u32_u24_e32 v6, 0x4e, v1
	v_lshlrev_b64_e32 v[1:2], 4, v[2:3]
	v_lshlrev_b64_e32 v[3:4], 4, v[4:5]
	s_delay_alu instid0(VALU_DEP_3) | instskip(NEXT) | instid1(VALU_DEP_3)
	v_sub_nc_u32_e32 v62, v0, v6
	v_add_co_u32 v0, s0, s4, v1
	s_wait_alu 0xf1ff
	s_delay_alu instid0(VALU_DEP_4) | instskip(NEXT) | instid1(VALU_DEP_3)
	v_add_co_ci_u32_e64 v1, s0, s5, v2, s0
	v_lshlrev_b32_e32 v2, 4, v62
	s_delay_alu instid0(VALU_DEP_3) | instskip(SKIP_1) | instid1(VALU_DEP_3)
	v_add_co_u32 v0, s0, v0, v3
	s_wait_alu 0xf1ff
	v_add_co_ci_u32_e64 v1, s0, v1, v4, s0
	s_delay_alu instid0(VALU_DEP_2) | instskip(SKIP_1) | instid1(VALU_DEP_2)
	v_add_co_u32 v4, s0, v0, v2
	s_wait_alu 0xf1ff
	v_add_co_ci_u32_e64 v5, s0, 0, v1, s0
	s_clause 0x9
	global_load_b128 v[0:3], v[4:5], off
	global_load_b128 v[8:11], v[4:5], off offset:1248
	global_load_b128 v[12:15], v[4:5], off offset:7488
	global_load_b128 v[24:27], v[4:5], off offset:8736
	global_load_b128 v[16:19], v[4:5], off offset:2496
	global_load_b128 v[20:23], v[4:5], off offset:3744
	global_load_b128 v[36:39], v[4:5], off offset:6240
	global_load_b128 v[28:31], v[4:5], off offset:4992
	global_load_b128 v[32:35], v[4:5], off offset:9984
	global_load_b128 v[40:43], v[4:5], off offset:11232
.LBB0_12:
	s_or_b32 exec_lo, exec_lo, s1
	s_wait_loadcnt 0x7
	v_add_f64_e64 v[47:48], v[8:9], -v[12:13]
	s_wait_loadcnt 0x5
	v_add_f64_e64 v[51:52], v[16:17], -v[24:25]
	;; [unrolled: 2-line block ×3, first 2 shown]
	v_add_f64_e64 v[68:69], v[0:1], -v[36:37]
	s_wait_loadcnt 0x0
	v_add_f64_e64 v[6:7], v[28:29], -v[40:41]
	v_mul_hi_u32 v4, 0xaaaaaaab, v44
	v_add_nc_u32_e32 v81, 0x4e, v62
	v_add_nc_u32_e32 v80, 0x9c, v62
	;; [unrolled: 1-line block ×3, first 2 shown]
	s_load_b64 s[2:3], s[2:3], 0x0
	v_cmp_gt_u32_e64 s1, 26, v62
	v_lshrrev_b32_e32 v12, 1, v4
	v_fma_f64 v[45:46], v[8:9], 2.0, -v[47:48]
	v_fma_f64 v[49:50], v[16:17], 2.0, -v[51:52]
	;; [unrolled: 1-line block ×5, first 2 shown]
	v_lshl_add_u32 v0, v12, 1, v12
                                        ; implicit-def: $vgpr16_vgpr17
                                        ; implicit-def: $vgpr20_vgpr21
	s_delay_alu instid0(VALU_DEP_1) | instskip(NEXT) | instid1(VALU_DEP_1)
	v_sub_nc_u32_e32 v0, v44, v0
	v_mul_u32_u24_e32 v0, 0x30c, v0
	s_delay_alu instid0(VALU_DEP_1) | instskip(SKIP_1) | instid1(VALU_DEP_2)
	v_lshlrev_b32_e32 v63, 3, v0
	v_lshlrev_b32_e32 v0, 3, v62
	v_add_nc_u32_e32 v1, 0, v63
	s_delay_alu instid0(VALU_DEP_2) | instskip(NEXT) | instid1(VALU_DEP_2)
	v_add3_u32 v78, 0, v0, v63
	v_lshl_add_u32 v12, v81, 4, v1
	v_add_nc_u32_e32 v79, v1, v0
	v_lshl_add_u32 v9, v80, 4, v1
	s_delay_alu instid0(VALU_DEP_4)
	v_add_nc_u32_e32 v0, 0x800, v78
	v_lshl_add_u32 v13, v62, 4, v1
	v_lshl_add_u32 v8, v77, 4, v1
	v_add_nc_u32_e32 v1, 0xc00, v78
	v_add_nc_u32_e32 v32, 0x1000, v78
	ds_store_b128 v12, v[45:48]
	ds_store_b128 v9, v[49:52]
	;; [unrolled: 1-line block ×4, first 2 shown]
	ds_store_b128 v13, v[4:7] offset:4992
	global_wb scope:SCOPE_SE
	s_wait_dscnt 0x0
	s_wait_kmcnt 0x0
	s_barrier_signal -1
	s_barrier_wait -1
	global_inv scope:SCOPE_SE
	ds_load_b64 v[4:5], v79
	ds_load_2addr_b64 v[52:55], v0 offset0:4 offset1:82
	ds_load_2addr_b64 v[48:51], v1 offset0:32 offset1:136
	ds_load_2addr_b64 v[44:47], v78 offset0:78 offset1:156
	ds_load_2addr_b64 v[56:59], v32 offset0:86 offset1:164
	v_add_nc_u32_e32 v28, 0x1380, v13
	s_and_saveexec_b32 s0, s1
	s_cbranch_execz .LBB0_14
; %bb.13:
	ds_load_b64 v[6:7], v78 offset:1872
	ds_load_b64 v[20:21], v78 offset:3952
	;; [unrolled: 1-line block ×3, first 2 shown]
.LBB0_14:
	s_wait_alu 0xfffe
	s_or_b32 exec_lo, exec_lo, s0
	v_add_f64_e64 v[36:37], v[2:3], -v[38:39]
	v_add_f64_e64 v[40:41], v[10:11], -v[14:15]
	;; [unrolled: 1-line block ×5, first 2 shown]
	global_wb scope:SCOPE_SE
	s_wait_dscnt 0x0
	s_barrier_signal -1
	s_barrier_wait -1
	global_inv scope:SCOPE_SE
	v_fma_f64 v[34:35], v[2:3], 2.0, -v[36:37]
	v_fma_f64 v[38:39], v[10:11], 2.0, -v[40:41]
	;; [unrolled: 1-line block ×5, first 2 shown]
                                        ; implicit-def: $vgpr18_vgpr19
	ds_store_b128 v13, v[34:37]
	ds_store_b128 v12, v[38:41]
	;; [unrolled: 1-line block ×5, first 2 shown]
	global_wb scope:SCOPE_SE
	s_wait_dscnt 0x0
	s_barrier_signal -1
	s_barrier_wait -1
	global_inv scope:SCOPE_SE
	ds_load_b64 v[30:31], v79
	ds_load_2addr_b64 v[12:15], v0 offset0:4 offset1:82
	ds_load_2addr_b64 v[8:11], v1 offset0:32 offset1:136
	ds_load_2addr_b64 v[26:29], v78 offset0:78 offset1:156
	ds_load_2addr_b64 v[0:3], v32 offset0:86 offset1:164
                                        ; implicit-def: $vgpr22_vgpr23
	s_and_saveexec_b32 s0, s1
	s_cbranch_execz .LBB0_16
; %bb.15:
	ds_load_b64 v[24:25], v78 offset:1872
	ds_load_b64 v[22:23], v78 offset:3952
	;; [unrolled: 1-line block ×3, first 2 shown]
.LBB0_16:
	s_wait_alu 0xfffe
	s_or_b32 exec_lo, exec_lo, s0
	v_and_b32_e32 v76, 1, v62
	s_mov_b32 s4, 0xe8584caa
	s_mov_b32 s5, 0xbfebb67a
	;; [unrolled: 1-line block ×3, first 2 shown]
	s_wait_alu 0xfffe
	s_mov_b32 s10, s4
	v_lshlrev_b32_e32 v32, 5, v76
	v_lshrrev_b32_e32 v77, 1, v77
	s_clause 0x1
	global_load_b128 v[72:75], v32, s[8:9]
	global_load_b128 v[82:85], v32, s[8:9] offset:16
	global_wb scope:SCOPE_SE
	s_wait_loadcnt_dscnt 0x0
	s_barrier_signal -1
	s_barrier_wait -1
	global_inv scope:SCOPE_SE
	v_mul_f64_e32 v[32:33], v[12:13], v[74:75]
	v_mul_f64_e32 v[34:35], v[10:11], v[84:85]
	;; [unrolled: 1-line block ×16, first 2 shown]
	v_fma_f64 v[66:67], v[52:53], v[72:73], v[32:33]
	v_fma_f64 v[68:69], v[50:51], v[82:83], v[34:35]
	;; [unrolled: 1-line block ×8, first 2 shown]
	v_fma_f64 v[56:57], v[12:13], v[72:73], -v[90:91]
	v_fma_f64 v[32:33], v[10:11], v[82:83], -v[92:93]
	v_fma_f64 v[58:59], v[14:15], v[72:73], -v[94:95]
	v_fma_f64 v[34:35], v[0:1], v[82:83], -v[96:97]
	v_fma_f64 v[70:71], v[8:9], v[72:73], -v[98:99]
	v_fma_f64 v[54:55], v[2:3], v[82:83], -v[100:101]
	v_fma_f64 v[74:75], v[22:23], v[72:73], -v[74:75]
	v_fma_f64 v[72:73], v[18:19], v[82:83], -v[84:85]
	v_add_f64_e32 v[12:13], v[4:5], v[66:67]
	v_add_f64_e32 v[0:1], v[66:67], v[68:69]
	;; [unrolled: 1-line block ×8, first 2 shown]
	v_add_f64_e64 v[14:15], v[56:57], -v[32:33]
	v_add_f64_e64 v[82:83], v[58:59], -v[34:35]
	;; [unrolled: 1-line block ×3, first 2 shown]
	v_add_f64_e32 v[50:51], v[12:13], v[68:69]
	v_fma_f64 v[4:5], v[0:1], -0.5, v[4:5]
	v_fma_f64 v[2:3], v[2:3], -0.5, v[44:45]
	v_add_f64_e64 v[44:45], v[70:71], -v[54:55]
	v_fma_f64 v[46:47], v[8:9], -0.5, v[46:47]
	v_add_f64_e32 v[8:9], v[16:17], v[52:53]
	v_fma_f64 v[86:87], v[10:11], -0.5, v[6:7]
	v_add_f64_e32 v[6:7], v[18:19], v[48:49]
	v_add_f64_e32 v[0:1], v[20:21], v[42:43]
	v_fma_f64 v[20:21], v[14:15], s[4:5], v[4:5]
	s_wait_alu 0xfffe
	v_fma_f64 v[22:23], v[14:15], s[10:11], v[4:5]
	v_fma_f64 v[10:11], v[82:83], s[4:5], v[2:3]
	;; [unrolled: 1-line block ×7, first 2 shown]
	v_lshrrev_b32_e32 v14, 1, v62
	v_lshrrev_b32_e32 v15, 1, v81
	;; [unrolled: 1-line block ×3, first 2 shown]
	s_delay_alu instid0(VALU_DEP_3) | instskip(NEXT) | instid1(VALU_DEP_3)
	v_mul_u32_u24_e32 v14, 6, v14
	v_mul_u32_u24_e32 v15, 6, v15
	s_delay_alu instid0(VALU_DEP_3) | instskip(NEXT) | instid1(VALU_DEP_3)
	v_mul_u32_u24_e32 v44, 6, v44
	v_or_b32_e32 v14, v14, v76
	s_delay_alu instid0(VALU_DEP_3) | instskip(NEXT) | instid1(VALU_DEP_3)
	v_or_b32_e32 v15, v15, v76
	v_or_b32_e32 v44, v44, v76
	s_delay_alu instid0(VALU_DEP_3) | instskip(NEXT) | instid1(VALU_DEP_3)
	v_lshlrev_b32_e32 v14, 3, v14
	v_lshlrev_b32_e32 v15, 3, v15
	s_delay_alu instid0(VALU_DEP_3) | instskip(NEXT) | instid1(VALU_DEP_3)
	v_lshlrev_b32_e32 v44, 3, v44
	v_add3_u32 v80, 0, v14, v63
	s_delay_alu instid0(VALU_DEP_3) | instskip(NEXT) | instid1(VALU_DEP_3)
	v_add3_u32 v81, 0, v15, v63
	v_add3_u32 v82, 0, v44, v63
	ds_store_2addr_b64 v80, v[50:51], v[20:21] offset1:2
	ds_store_b64 v80, v[22:23] offset:32
	ds_store_2addr_b64 v81, v[8:9], v[10:11] offset1:2
	ds_store_b64 v81, v[4:5] offset:32
	ds_store_2addr_b64 v82, v[6:7], v[16:17] offset1:2
	ds_store_b64 v82, v[18:19] offset:32
	s_and_saveexec_b32 s0, s1
	s_cbranch_execz .LBB0_18
; %bb.17:
	v_mul_u32_u24_e32 v14, 6, v77
	s_delay_alu instid0(VALU_DEP_1) | instskip(NEXT) | instid1(VALU_DEP_1)
	v_or_b32_e32 v14, v14, v76
	v_lshlrev_b32_e32 v14, 3, v14
	s_delay_alu instid0(VALU_DEP_1)
	v_add3_u32 v14, 0, v14, v63
	ds_store_2addr_b64 v14, v[0:1], v[2:3] offset1:2
	ds_store_b64 v14, v[12:13] offset:32
.LBB0_18:
	s_wait_alu 0xfffe
	s_or_b32 exec_lo, exec_lo, s0
	v_cmp_gt_u32_e64 s0, 60, v62
	global_wb scope:SCOPE_SE
	s_wait_dscnt 0x0
	s_barrier_signal -1
	s_barrier_wait -1
	global_inv scope:SCOPE_SE
	s_and_saveexec_b32 s4, s0
	s_cbranch_execz .LBB0_20
; %bb.19:
	v_add_nc_u32_e32 v0, 0x800, v78
	v_add_nc_u32_e32 v12, 0x1000, v78
	ds_load_b64 v[50:51], v79
	ds_load_2addr_b64 v[20:23], v78 offset0:60 offset1:120
	ds_load_2addr_b64 v[8:11], v78 offset0:180 offset1:240
	;; [unrolled: 1-line block ×6, first 2 shown]
.LBB0_20:
	s_wait_alu 0xfffe
	s_or_b32 exec_lo, exec_lo, s4
	v_add_f64_e32 v[44:45], v[56:57], v[32:33]
	v_add_f64_e32 v[46:47], v[58:59], v[34:35]
	;; [unrolled: 1-line block ×5, first 2 shown]
	v_add_f64_e64 v[66:67], v[66:67], -v[68:69]
	v_add_f64_e32 v[58:59], v[26:27], v[58:59]
	v_add_f64_e32 v[68:69], v[28:29], v[70:71]
	;; [unrolled: 1-line block ×3, first 2 shown]
	v_add_f64_e64 v[38:39], v[38:39], -v[52:53]
	v_add_f64_e64 v[52:53], v[40:41], -v[48:49]
	;; [unrolled: 1-line block ×3, first 2 shown]
	s_mov_b32 s4, 0xe8584caa
	s_mov_b32 s5, 0x3febb67a
	;; [unrolled: 1-line block ×3, first 2 shown]
	s_wait_alu 0xfffe
	s_mov_b32 s10, s4
	global_wb scope:SCOPE_SE
	s_wait_dscnt 0x0
	s_barrier_signal -1
	s_barrier_wait -1
	global_inv scope:SCOPE_SE
	v_fma_f64 v[74:75], v[44:45], -0.5, v[30:31]
	v_fma_f64 v[26:27], v[46:47], -0.5, v[26:27]
	;; [unrolled: 1-line block ×4, first 2 shown]
	v_add_f64_e32 v[48:49], v[56:57], v[32:33]
	v_add_f64_e32 v[32:33], v[58:59], v[34:35]
	;; [unrolled: 1-line block ×4, first 2 shown]
	v_fma_f64 v[44:45], v[66:67], s[4:5], v[74:75]
	s_wait_alu 0xfffe
	v_fma_f64 v[46:47], v[66:67], s[10:11], v[74:75]
	v_fma_f64 v[34:35], v[38:39], s[4:5], v[26:27]
	;; [unrolled: 1-line block ×7, first 2 shown]
	ds_store_2addr_b64 v80, v[48:49], v[44:45] offset1:2
	ds_store_b64 v80, v[46:47] offset:32
	ds_store_2addr_b64 v81, v[32:33], v[34:35] offset1:2
	ds_store_b64 v81, v[28:29] offset:32
	;; [unrolled: 2-line block ×3, first 2 shown]
	s_and_saveexec_b32 s4, s1
	s_cbranch_execz .LBB0_22
; %bb.21:
	v_mul_u32_u24_e32 v38, 6, v77
	s_delay_alu instid0(VALU_DEP_1) | instskip(NEXT) | instid1(VALU_DEP_1)
	v_or_b32_e32 v38, v38, v76
	v_lshlrev_b32_e32 v38, 3, v38
	s_delay_alu instid0(VALU_DEP_1)
	v_add3_u32 v38, 0, v38, v63
	ds_store_2addr_b64 v38, v[24:25], v[26:27] offset1:2
	ds_store_b64 v38, v[36:37] offset:32
.LBB0_22:
	s_wait_alu 0xfffe
	s_or_b32 exec_lo, exec_lo, s4
	global_wb scope:SCOPE_SE
	s_wait_dscnt 0x0
	s_barrier_signal -1
	s_barrier_wait -1
	global_inv scope:SCOPE_SE
	s_and_saveexec_b32 s1, s0
	s_cbranch_execz .LBB0_24
; %bb.23:
	v_add_nc_u32_e32 v24, 0x800, v78
	v_add_nc_u32_e32 v36, 0x1000, v78
	ds_load_b64 v[48:49], v79
	ds_load_2addr_b64 v[44:47], v78 offset0:60 offset1:120
	ds_load_2addr_b64 v[32:35], v78 offset0:180 offset1:240
	;; [unrolled: 1-line block ×6, first 2 shown]
.LBB0_24:
	s_wait_alu 0xfffe
	s_or_b32 exec_lo, exec_lo, s1
	v_and_b32_e32 v52, 0xff, v62
	s_delay_alu instid0(VALU_DEP_1) | instskip(NEXT) | instid1(VALU_DEP_1)
	v_mul_lo_u16 v52, 0xab, v52
	v_lshrrev_b16 v138, 10, v52
	s_delay_alu instid0(VALU_DEP_1) | instskip(NEXT) | instid1(VALU_DEP_1)
	v_mul_lo_u16 v52, v138, 6
	v_sub_nc_u16 v52, v62, v52
	s_delay_alu instid0(VALU_DEP_1) | instskip(NEXT) | instid1(VALU_DEP_1)
	v_and_b32_e32 v139, 0xff, v52
	v_mul_u32_u24_e32 v52, 12, v139
	s_delay_alu instid0(VALU_DEP_1)
	v_lshlrev_b32_e32 v66, 4, v52
	s_clause 0xb
	global_load_b128 v[52:55], v66, s[8:9] offset:64
	global_load_b128 v[56:59], v66, s[8:9] offset:80
	;; [unrolled: 1-line block ×12, first 2 shown]
	global_wb scope:SCOPE_SE
	s_wait_loadcnt_dscnt 0x0
	s_barrier_signal -1
	s_barrier_wait -1
	global_inv scope:SCOPE_SE
	v_mul_f64_e32 v[66:67], v[44:45], v[54:55]
	v_mul_f64_e32 v[54:55], v[20:21], v[54:55]
	;; [unrolled: 1-line block ×24, first 2 shown]
	v_fma_f64 v[72:73], v[20:21], v[52:53], v[66:67]
	v_fma_f64 v[74:75], v[44:45], v[52:53], -v[54:55]
	v_fma_f64 v[66:67], v[22:23], v[56:57], v[76:77]
	v_fma_f64 v[70:71], v[46:47], v[56:57], -v[58:59]
	;; [unrolled: 2-line block ×12, first 2 shown]
	v_and_b32_e32 v80, 0xffff, v138
	v_lshlrev_b32_e32 v81, 3, v139
	s_and_saveexec_b32 s1, s0
	s_cbranch_execz .LBB0_26
; %bb.25:
	v_add_f64_e32 v[0:1], v[50:51], v[72:73]
	s_delay_alu instid0(VALU_DEP_4)
	v_add_f64_e64 v[6:7], v[74:75], -v[16:17]
	v_add_f64_e64 v[2:3], v[68:69], -v[20:21]
	;; [unrolled: 1-line block ×6, first 2 shown]
	s_mov_b32 s20, 0x66966769
	s_mov_b32 s22, 0x2ef20147
	s_mov_b32 s24, 0x42a4c3d2
	s_mov_b32 s26, 0x24c2f84
	s_mov_b32 s28, 0x4bc48dbf
	s_mov_b32 s21, 0x3fefc445
	s_mov_b32 s23, 0xbfedeba7
	s_mov_b32 s25, 0x3fea55e2
	s_mov_b32 s27, 0xbfe5384d
	s_mov_b32 s31, 0xbfea55e2
	s_mov_b32 s29, 0xbfcea1e5
	s_mov_b32 s35, 0xbfefc445
	s_wait_alu 0xfffe
	s_mov_b32 s30, s24
	s_mov_b32 s34, s20
	v_add_f64_e32 v[14:15], v[72:73], v[76:77]
	s_mov_b32 s5, 0x3fddbe06
	s_mov_b32 s4, 0x4267c47c
	;; [unrolled: 1-line block ×12, first 2 shown]
	v_add_f64_e32 v[98:99], v[66:67], v[26:27]
	s_mov_b32 s18, 0xe00740e9
	s_mov_b32 s19, 0x3fec55a7
	s_mov_b32 s39, 0x3fedeba7
	v_add_f64_e32 v[0:1], v[0:1], v[66:67]
	v_mul_f64_e32 v[82:83], s[28:29], v[6:7]
	v_mul_f64_e32 v[86:87], s[26:27], v[6:7]
	;; [unrolled: 1-line block ×3, first 2 shown]
	s_wait_alu 0xfffe
	v_mul_f64_e32 v[92:93], s[34:35], v[6:7]
	v_mul_f64_e32 v[94:95], s[30:31], v[6:7]
	;; [unrolled: 1-line block ×7, first 2 shown]
	s_mov_b32 s5, 0xbfddbe06
	v_mul_f64_e32 v[100:101], s[20:21], v[8:9]
	s_wait_alu 0xfffe
	v_mul_f64_e32 v[6:7], s[4:5], v[6:7]
	s_mov_b32 s4, 0x1ea71119
	s_mov_b32 s5, 0x3fe22d96
	v_mul_f64_e32 v[102:103], s[36:37], v[8:9]
	v_mul_f64_e32 v[104:105], s[28:29], v[8:9]
	;; [unrolled: 1-line block ×4, first 2 shown]
	s_mov_b32 s38, s22
	v_mul_f64_e32 v[120:121], s[26:27], v[2:3]
	v_mul_f64_e32 v[122:123], s[30:31], v[2:3]
	;; [unrolled: 1-line block ×5, first 2 shown]
	s_mov_b32 s39, 0x3fcea1e5
	s_mov_b32 s38, s28
	v_mul_f64_e32 v[142:143], s[34:35], v[12:13]
	s_wait_alu 0xfffe
	v_mul_f64_e32 v[140:141], s[38:39], v[12:13]
	v_mul_f64_e32 v[144:145], s[36:37], v[12:13]
	v_add_f64_e32 v[0:1], v[0:1], v[56:57]
	v_fma_f64 v[108:109], v[14:15], s[14:15], -v[82:83]
	v_fma_f64 v[82:83], v[14:15], s[14:15], v[82:83]
	v_fma_f64 v[110:111], v[14:15], s[16:17], -v[86:87]
	v_fma_f64 v[86:87], v[14:15], s[16:17], v[86:87]
	;; [unrolled: 2-line block ×3, first 2 shown]
	v_fma_f64 v[116:117], v[14:15], s[4:5], v[94:95]
	v_fma_f64 v[90:91], v[14:15], s[10:11], v[90:91]
	v_fma_f64 v[92:93], v[14:15], s[12:13], -v[92:93]
	v_fma_f64 v[94:95], v[14:15], s[4:5], -v[94:95]
	;; [unrolled: 1-line block ×3, first 2 shown]
	v_fma_f64 v[84:85], v[98:99], s[18:19], v[84:85]
	v_fma_f64 v[118:119], v[14:15], s[18:19], v[6:7]
	v_fma_f64 v[6:7], v[14:15], s[18:19], -v[6:7]
	v_add_f64_e32 v[14:15], v[56:57], v[58:59]
	v_fma_f64 v[130:131], v[98:99], s[12:13], -v[100:101]
	v_fma_f64 v[100:101], v[98:99], s[12:13], v[100:101]
	v_fma_f64 v[132:133], v[98:99], s[16:17], -v[102:103]
	v_fma_f64 v[102:103], v[98:99], s[16:17], v[102:103]
	;; [unrolled: 2-line block ×5, first 2 shown]
	v_add_f64_e32 v[0:1], v[0:1], v[46:47]
	v_add_f64_e32 v[98:99], v[50:51], v[108:109]
	;; [unrolled: 1-line block ×14, first 2 shown]
	v_mul_f64_e32 v[118:119], s[24:25], v[12:13]
	v_mul_f64_e32 v[12:13], s[22:23], v[12:13]
	v_fma_f64 v[146:147], v[14:15], s[16:17], -v[120:121]
	v_fma_f64 v[120:121], v[14:15], s[16:17], v[120:121]
	v_fma_f64 v[148:149], v[14:15], s[4:5], -v[122:123]
	v_fma_f64 v[122:123], v[14:15], s[4:5], v[122:123]
	;; [unrolled: 2-line block ×6, first 2 shown]
	v_add_f64_e32 v[0:1], v[0:1], v[34:35]
	v_add_f64_e32 v[14:15], v[128:129], v[98:99]
	;; [unrolled: 1-line block ×12, first 2 shown]
	v_mul_f64_e32 v[106:107], s[22:23], v[10:11]
	v_add_f64_e32 v[8:9], v[8:9], v[116:117]
	v_add_f64_e32 v[6:7], v[138:139], v[6:7]
	v_mul_f64_e32 v[108:109], s[38:39], v[10:11]
	v_mul_f64_e32 v[110:111], s[30:31], v[10:11]
	;; [unrolled: 1-line block ×3, first 2 shown]
	v_fma_f64 v[114:115], v[50:51], s[4:5], -v[118:119]
	v_fma_f64 v[116:117], v[50:51], s[4:5], v[118:119]
	v_fma_f64 v[118:119], v[50:51], s[14:15], -v[140:141]
	v_fma_f64 v[128:129], v[50:51], s[14:15], v[140:141]
	;; [unrolled: 2-line block ×6, first 2 shown]
	v_mul_f64_e32 v[10:11], s[26:27], v[10:11]
	v_add_f64_e32 v[0:1], v[0:1], v[22:23]
	v_add_f64_e32 v[14:15], v[146:147], v[14:15]
	;; [unrolled: 1-line block ×11, first 2 shown]
	v_mul_f64_e32 v[94:95], s[20:21], v[4:5]
	v_mul_f64_e32 v[104:105], s[22:23], v[4:5]
	v_add_f64_e32 v[2:3], v[2:3], v[8:9]
	v_add_f64_e32 v[6:7], v[156:157], v[6:7]
	;; [unrolled: 1-line block ×3, first 2 shown]
	v_mul_f64_e32 v[120:121], s[24:25], v[4:5]
	v_mul_f64_e32 v[122:123], s[26:27], v[4:5]
	;; [unrolled: 1-line block ×3, first 2 shown]
	v_fma_f64 v[124:125], v[102:103], s[10:11], -v[106:107]
	v_fma_f64 v[106:107], v[102:103], s[10:11], v[106:107]
	v_fma_f64 v[126:127], v[102:103], s[18:19], -v[88:89]
	v_fma_f64 v[88:89], v[102:103], s[18:19], v[88:89]
	v_fma_f64 v[142:143], v[102:103], s[14:15], -v[108:109]
	v_fma_f64 v[144:145], v[102:103], s[4:5], -v[110:111]
	v_fma_f64 v[110:111], v[102:103], s[4:5], v[110:111]
	v_fma_f64 v[146:147], v[102:103], s[12:13], -v[112:113]
	v_fma_f64 v[112:113], v[102:103], s[12:13], v[112:113]
	v_fma_f64 v[108:109], v[102:103], s[14:15], v[108:109]
	v_fma_f64 v[148:149], v[102:103], s[16:17], -v[10:11]
	v_fma_f64 v[10:11], v[102:103], s[16:17], v[10:11]
	v_add_f64_e32 v[0:1], v[0:1], v[28:29]
	v_add_f64_e32 v[14:15], v[114:115], v[14:15]
	;; [unrolled: 1-line block ×13, first 2 shown]
	v_fma_f64 v[12:13], v[8:9], s[12:13], -v[94:95]
	v_fma_f64 v[94:95], v[8:9], s[12:13], v[94:95]
	v_fma_f64 v[100:101], v[8:9], s[10:11], -v[104:105]
	v_fma_f64 v[102:103], v[8:9], s[10:11], v[104:105]
	;; [unrolled: 2-line block ×6, first 2 shown]
	v_add_f64_e32 v[0:1], v[0:1], v[40:41]
	v_add_f64_e32 v[8:9], v[124:125], v[14:15]
	;; [unrolled: 1-line block ×26, first 2 shown]
	v_mad_u32_u24 v6, 0x270, v80, 0
	s_delay_alu instid0(VALU_DEP_1) | instskip(SKIP_1) | instid1(VALU_DEP_1)
	v_add3_u32 v6, v6, v81, v63
	v_add_f64_e32 v[0:1], v[0:1], v[58:59]
	v_add_f64_e32 v[0:1], v[0:1], v[26:27]
	s_delay_alu instid0(VALU_DEP_1)
	v_add_f64_e32 v[0:1], v[0:1], v[76:77]
	ds_store_2addr_b64 v6, v[38:39], v[82:83] offset0:12 offset1:18
	ds_store_2addr_b64 v6, v[36:37], v[14:15] offset0:24 offset1:30
	;; [unrolled: 1-line block ×5, first 2 shown]
	ds_store_2addr_b64 v6, v[0:1], v[2:3] offset1:6
	ds_store_b64 v6, v[4:5] offset:576
.LBB0_26:
	s_wait_alu 0xfffe
	s_or_b32 exec_lo, exec_lo, s1
	v_add_nc_u32_e32 v82, 0x400, v78
	v_add_nc_u32_e32 v50, 0x800, v78
	;; [unrolled: 1-line block ×3, first 2 shown]
	global_wb scope:SCOPE_SE
	s_wait_dscnt 0x0
	s_barrier_signal -1
	s_barrier_wait -1
	global_inv scope:SCOPE_SE
	ds_load_2addr_b64 v[0:3], v78 offset0:78 offset1:156
	ds_load_2addr_b64 v[4:7], v82 offset0:106 offset1:184
	ds_load_2addr_b64 v[8:11], v50 offset0:134 offset1:212
	ds_load_2addr_b64 v[12:15], v51 offset0:34 offset1:112
	ds_load_b64 v[36:37], v79
	ds_load_b64 v[38:39], v78 offset:5616
	global_wb scope:SCOPE_SE
	s_wait_dscnt 0x0
	s_barrier_signal -1
	s_barrier_wait -1
	global_inv scope:SCOPE_SE
	s_and_saveexec_b32 s33, s0
	s_cbranch_execz .LBB0_28
; %bb.27:
	v_add_f64_e32 v[83:84], v[48:49], v[74:75]
	v_add_f64_e32 v[74:75], v[74:75], v[16:17]
	s_mov_b32 s0, 0xe00740e9
	s_mov_b32 s30, 0x1ea71119
	;; [unrolled: 1-line block ×11, first 2 shown]
	v_add_f64_e64 v[72:73], v[72:73], -v[76:77]
	s_mov_b32 s43, 0xbfef11f4
	s_mov_b32 s4, 0x4267c47c
	;; [unrolled: 1-line block ×10, first 2 shown]
	s_wait_alu 0xfffe
	s_mov_b32 s18, s14
	s_mov_b32 s21, 0x3fedeba7
	;; [unrolled: 1-line block ×8, first 2 shown]
	v_add_f64_e64 v[26:27], v[66:67], -v[26:27]
	s_wait_alu 0xfffe
	s_mov_b32 s40, s38
	s_mov_b32 s37, 0xbfe5384d
	;; [unrolled: 1-line block ×5, first 2 shown]
	v_add_f64_e32 v[83:84], v[83:84], v[70:71]
	v_add_f64_e32 v[70:71], v[70:71], v[18:19]
	v_mul_f64_e32 v[76:77], s[0:1], v[74:75]
	v_mul_f64_e32 v[85:86], s[30:31], v[74:75]
	;; [unrolled: 1-line block ×6, first 2 shown]
	s_mov_b32 s11, 0xbfddbe06
	s_mov_b32 s10, s4
	v_add_f64_e64 v[56:57], v[56:57], -v[58:59]
	v_add_f64_e64 v[46:47], v[46:47], -v[52:53]
	;; [unrolled: 1-line block ×4, first 2 shown]
	v_add_f64_e32 v[83:84], v[83:84], v[68:69]
	v_add_f64_e32 v[68:69], v[68:69], v[20:21]
	v_mul_f64_e32 v[66:67], s[30:31], v[70:71]
	v_mul_f64_e32 v[93:94], s[28:29], v[70:71]
	;; [unrolled: 1-line block ×6, first 2 shown]
	v_fma_f64 v[101:102], v[72:73], s[4:5], v[76:77]
	v_fma_f64 v[103:104], v[72:73], s[14:15], v[85:86]
	;; [unrolled: 1-line block ×9, first 2 shown]
	s_wait_alu 0xfffe
	v_fma_f64 v[91:92], v[72:73], s[36:37], v[91:92]
	v_fma_f64 v[87:88], v[72:73], s[16:17], v[87:88]
	;; [unrolled: 1-line block ×3, first 2 shown]
	v_add_f64_e32 v[83:84], v[83:84], v[54:55]
	v_add_f64_e32 v[54:55], v[54:55], v[24:25]
	v_mul_f64_e32 v[58:59], s[26:27], v[68:69]
	v_mul_f64_e32 v[76:77], s[42:43], v[68:69]
	;; [unrolled: 1-line block ×6, first 2 shown]
	v_fma_f64 v[119:120], v[26:27], s[14:15], v[66:67]
	v_fma_f64 v[66:67], v[26:27], s[18:19], v[66:67]
	;; [unrolled: 1-line block ×12, first 2 shown]
	v_add_f64_e32 v[70:71], v[48:49], v[101:102]
	v_add_f64_e32 v[101:102], v[48:49], v[103:104]
	;; [unrolled: 1-line block ×14, first 2 shown]
	v_mul_f64_e32 v[52:53], s[28:29], v[54:55]
	v_mul_f64_e32 v[72:73], s[34:35], v[54:55]
	;; [unrolled: 1-line block ×6, first 2 shown]
	v_fma_f64 v[135:136], v[56:57], s[12:13], v[58:59]
	v_fma_f64 v[58:59], v[56:57], s[16:17], v[58:59]
	;; [unrolled: 1-line block ×12, first 2 shown]
	v_add_f64_e32 v[68:69], v[119:120], v[70:71]
	v_add_f64_e32 v[70:71], v[121:122], v[101:102]
	;; [unrolled: 1-line block ×14, first 2 shown]
	v_mul_f64_e32 v[40:41], s[26:27], v[44:45]
	v_mul_f64_e32 v[66:67], s[30:31], v[44:45]
	;; [unrolled: 1-line block ×3, first 2 shown]
	v_fma_f64 v[95:96], v[46:47], s[20:21], v[52:53]
	v_fma_f64 v[52:53], v[46:47], s[22:23], v[52:53]
	;; [unrolled: 1-line block ×12, first 2 shown]
	v_add_f64_e32 v[54:55], v[135:136], v[68:69]
	v_add_f64_e32 v[68:69], v[137:138], v[70:71]
	;; [unrolled: 1-line block ×12, first 2 shown]
	v_mul_f64_e32 v[32:33], s[34:35], v[44:45]
	v_mul_f64_e32 v[28:29], s[42:43], v[30:31]
	;; [unrolled: 1-line block ×4, first 2 shown]
	v_fma_f64 v[113:114], v[34:35], s[16:17], v[40:41]
	v_fma_f64 v[40:41], v[34:35], s[12:13], v[40:41]
	;; [unrolled: 1-line block ×6, first 2 shown]
	v_add_f64_e32 v[26:27], v[46:47], v[26:27]
	v_add_f64_e32 v[46:47], v[121:122], v[56:57]
	;; [unrolled: 1-line block ×4, first 2 shown]
	v_mul_f64_e32 v[83:84], s[42:43], v[44:45]
	v_mul_f64_e32 v[44:45], s[28:29], v[44:45]
	v_fma_f64 v[103:104], v[34:35], s[24:25], v[32:33]
	v_fma_f64 v[32:33], v[34:35], s[36:37], v[32:33]
	v_add_f64_e32 v[24:25], v[42:43], v[24:25]
	v_add_f64_e32 v[42:43], v[58:59], v[48:49]
	v_mul_f64_e32 v[48:49], s[0:1], v[30:31]
	v_mul_f64_e32 v[58:59], s[34:35], v[30:31]
	v_mul_f64_e32 v[30:31], s[26:27], v[30:31]
	v_fma_f64 v[117:118], v[34:35], s[40:41], v[83:84]
	v_fma_f64 v[83:84], v[34:35], s[38:39], v[83:84]
	;; [unrolled: 1-line block ×4, first 2 shown]
	v_add_f64_e32 v[44:45], v[95:96], v[54:55]
	v_add_f64_e32 v[54:55], v[99:100], v[68:69]
	;; [unrolled: 1-line block ×8, first 2 shown]
	v_fma_f64 v[93:94], v[22:23], s[18:19], v[87:88]
	v_fma_f64 v[87:88], v[22:23], s[14:15], v[87:88]
	;; [unrolled: 1-line block ×4, first 2 shown]
	v_add_f64_e32 v[20:21], v[24:25], v[20:21]
	v_add_f64_e32 v[24:25], v[52:53], v[42:43]
	v_fma_f64 v[42:43], v[22:23], s[38:39], v[28:29]
	v_fma_f64 v[28:29], v[22:23], s[40:41], v[28:29]
	;; [unrolled: 1-line block ×8, first 2 shown]
	v_add_f64_e32 v[30:31], v[103:104], v[44:45]
	v_add_f64_e32 v[44:45], v[113:114], v[54:55]
	;; [unrolled: 1-line block ×26, first 2 shown]
	v_mad_u32_u24 v20, 0x270, v80, 0
	s_delay_alu instid0(VALU_DEP_1)
	v_add3_u32 v20, v20, v81, v63
	ds_store_2addr_b64 v20, v[30:31], v[40:41] offset0:12 offset1:18
	ds_store_2addr_b64 v20, v[42:43], v[48:49] offset0:24 offset1:30
	;; [unrolled: 1-line block ×5, first 2 shown]
	ds_store_2addr_b64 v20, v[16:17], v[24:25] offset1:6
	ds_store_b64 v20, v[18:19] offset:576
.LBB0_28:
	s_or_b32 exec_lo, exec_lo, s33
	v_dual_mov_b32 v17, 0 :: v_dual_lshlrev_b32 v16, 2, v62
	global_wb scope:SCOPE_SE
	s_wait_dscnt 0x0
	s_barrier_signal -1
	s_barrier_wait -1
	global_inv scope:SCOPE_SE
	v_lshlrev_b64_e32 v[18:19], 4, v[16:17]
	s_mov_b32 s5, 0x3fee6f0e
	s_mov_b32 s10, 0x4755a5e
	s_mov_b32 s11, 0xbfe2cf23
	s_mov_b32 s13, 0x3fe2cf23
	s_wait_alu 0xfffe
	s_mov_b32 s12, s10
	v_add_co_u32 v30, s0, s8, v18
	s_wait_alu 0xf1ff
	v_add_co_ci_u32_e64 v31, s0, s9, v19, s0
	s_mov_b32 s0, 0x134454ff
	s_mov_b32 s1, 0xbfee6f0e
	s_clause 0x3
	global_load_b128 v[18:21], v[30:31], off offset:1232
	global_load_b128 v[22:25], v[30:31], off offset:1248
	;; [unrolled: 1-line block ×4, first 2 shown]
	ds_load_2addr_b64 v[40:43], v82 offset0:106 offset1:184
	ds_load_2addr_b64 v[44:47], v50 offset0:134 offset1:212
	ds_load_2addr_b64 v[52:55], v78 offset0:78 offset1:156
	ds_load_2addr_b64 v[56:59], v51 offset0:34 offset1:112
	ds_load_b64 v[34:35], v78 offset:5616
	s_wait_alu 0xfffe
	s_mov_b32 s4, s0
	v_add_nc_u32_e32 v16, 0xc00, v78
	s_wait_loadcnt_dscnt 0x304
	v_mul_f64_e32 v[48:49], v[42:43], v[20:21]
	s_wait_loadcnt_dscnt 0x203
	v_mul_f64_e32 v[66:67], v[46:47], v[24:25]
	;; [unrolled: 2-line block ×4, first 2 shown]
	v_mul_f64_e32 v[72:73], v[44:45], v[20:21]
	v_mul_f64_e32 v[74:75], v[56:57], v[24:25]
	;; [unrolled: 1-line block ×3, first 2 shown]
	s_wait_dscnt 0x0
	v_mul_f64_e32 v[80:81], v[34:35], v[32:33]
	v_mul_f64_e32 v[83:84], v[6:7], v[20:21]
	;; [unrolled: 1-line block ×9, first 2 shown]
	v_fma_f64 v[6:7], v[6:7], v[18:19], v[48:49]
	v_fma_f64 v[10:11], v[10:11], v[22:23], v[66:67]
	;; [unrolled: 1-line block ×8, first 2 shown]
	v_fma_f64 v[42:43], v[42:43], v[18:19], -v[83:84]
	v_fma_f64 v[46:47], v[46:47], v[22:23], -v[85:86]
	;; [unrolled: 1-line block ×8, first 2 shown]
	ds_load_b64 v[58:59], v79
	global_wb scope:SCOPE_SE
	s_wait_dscnt 0x0
	s_barrier_signal -1
	s_barrier_wait -1
	global_inv scope:SCOPE_SE
	v_add_f64_e32 v[26:27], v[6:7], v[10:11]
	v_add_f64_e32 v[66:67], v[36:37], v[2:3]
	;; [unrolled: 1-line block ×3, first 2 shown]
	v_add_f64_e64 v[76:77], v[14:15], -v[10:11]
	v_add_f64_e32 v[30:31], v[8:9], v[12:13]
	v_add_f64_e32 v[70:71], v[0:1], v[4:5]
	;; [unrolled: 1-line block ×3, first 2 shown]
	v_add_f64_e64 v[80:81], v[6:7], -v[2:3]
	v_add_f64_e32 v[34:35], v[42:43], v[46:47]
	v_add_f64_e64 v[72:73], v[42:43], -v[46:47]
	v_add_f64_e32 v[40:41], v[48:49], v[54:55]
	;; [unrolled: 2-line block ×4, first 2 shown]
	v_add_f64_e32 v[85:86], v[58:59], v[48:49]
	v_add_f64_e32 v[87:88], v[52:53], v[22:23]
	v_add_f64_e64 v[89:90], v[6:7], -v[10:11]
	v_add_f64_e64 v[91:92], v[8:9], -v[12:13]
	;; [unrolled: 1-line block ×12, first 2 shown]
	v_fma_f64 v[26:27], v[26:27], -0.5, v[36:37]
	v_fma_f64 v[28:29], v[28:29], -0.5, v[36:37]
	v_add_f64_e64 v[36:37], v[22:23], -v[24:25]
	v_fma_f64 v[30:31], v[30:31], -0.5, v[0:1]
	v_add_f64_e64 v[22:23], v[18:19], -v[22:23]
	v_fma_f64 v[0:1], v[32:33], -0.5, v[0:1]
	v_add_f64_e64 v[32:33], v[2:3], -v[6:7]
	v_add_f64_e64 v[2:3], v[2:3], -v[14:15]
	v_fma_f64 v[34:35], v[34:35], -0.5, v[58:59]
	v_fma_f64 v[40:41], v[40:41], -0.5, v[58:59]
	v_add_f64_e64 v[58:59], v[4:5], -v[38:39]
	v_fma_f64 v[44:45], v[44:45], -0.5, v[52:53]
	v_add_f64_e32 v[6:7], v[66:67], v[6:7]
	v_fma_f64 v[52:53], v[56:57], -0.5, v[52:53]
	v_add_f64_e64 v[56:57], v[4:5], -v[8:9]
	v_add_f64_e64 v[4:5], v[8:9], -v[4:5]
	v_add_f64_e32 v[8:9], v[70:71], v[8:9]
	v_add_f64_e32 v[42:43], v[85:86], v[42:43]
	;; [unrolled: 1-line block ×5, first 2 shown]
	v_fma_f64 v[66:67], v[68:69], s[0:1], v[26:27]
	s_wait_alu 0xfffe
	v_fma_f64 v[26:27], v[68:69], s[4:5], v[26:27]
	v_fma_f64 v[70:71], v[72:73], s[4:5], v[28:29]
	;; [unrolled: 1-line block ×7, first 2 shown]
	v_add_f64_e32 v[32:33], v[32:33], v[76:77]
	v_fma_f64 v[76:77], v[2:3], s[4:5], v[34:35]
	v_fma_f64 v[34:35], v[2:3], s[0:1], v[34:35]
	;; [unrolled: 1-line block ×8, first 2 shown]
	v_add_f64_e32 v[6:7], v[6:7], v[10:11]
	v_add_f64_e32 v[8:9], v[8:9], v[12:13]
	;; [unrolled: 1-line block ×7, first 2 shown]
	s_mov_b32 s0, 0x372fe950
	s_mov_b32 s1, 0x3fd3c6ef
	v_fma_f64 v[10:11], v[72:73], s[10:11], v[66:67]
	v_fma_f64 v[12:13], v[72:73], s[12:13], v[26:27]
	;; [unrolled: 1-line block ×8, first 2 shown]
	v_add_f64_e32 v[36:37], v[101:102], v[103:104]
	v_fma_f64 v[20:21], v[89:90], s[12:13], v[76:77]
	v_fma_f64 v[34:35], v[89:90], s[10:11], v[34:35]
	v_fma_f64 v[46:47], v[2:3], s[12:13], v[85:86]
	v_fma_f64 v[2:3], v[2:3], s[10:11], v[40:41]
	v_add_f64_e32 v[70:71], v[107:108], v[109:110]
	v_fma_f64 v[40:41], v[91:92], s[12:13], v[87:88]
	v_fma_f64 v[72:73], v[58:59], s[12:13], v[113:114]
	;; [unrolled: 1-line block ×4, first 2 shown]
	v_add_f64_e32 v[6:7], v[6:7], v[14:15]
	v_add_f64_e32 v[8:9], v[8:9], v[38:39]
	;; [unrolled: 1-line block ×4, first 2 shown]
	s_wait_alu 0xfffe
	v_fma_f64 v[10:11], v[32:33], s[0:1], v[10:11]
	v_fma_f64 v[12:13], v[32:33], s[0:1], v[12:13]
	;; [unrolled: 1-line block ×8, first 2 shown]
	ds_store_2addr_b64 v78, v[6:7], v[10:11] offset1:78
	ds_store_2addr_b64 v78, v[14:15], v[26:27] offset0:156 offset1:234
	ds_store_2addr_b64 v50, v[12:13], v[8:9] offset0:56 offset1:134
	;; [unrolled: 1-line block ×4, first 2 shown]
	v_fma_f64 v[42:43], v[36:37], s[0:1], v[20:21]
	v_fma_f64 v[34:35], v[36:37], s[0:1], v[34:35]
	;; [unrolled: 1-line block ×8, first 2 shown]
	global_wb scope:SCOPE_SE
	s_wait_dscnt 0x0
	s_barrier_signal -1
	s_barrier_wait -1
	global_inv scope:SCOPE_SE
	ds_load_2addr_b64 v[12:15], v50 offset0:134 offset1:212
	ds_load_2addr_b64 v[0:3], v78 offset0:78 offset1:156
	;; [unrolled: 1-line block ×4, first 2 shown]
	ds_load_b64 v[18:19], v79
	ds_load_b64 v[20:21], v78 offset:5616
	global_wb scope:SCOPE_SE
	s_wait_dscnt 0x0
	s_barrier_signal -1
	s_barrier_wait -1
	global_inv scope:SCOPE_SE
	ds_store_2addr_b64 v78, v[38:39], v[42:43] offset1:78
	ds_store_2addr_b64 v78, v[36:37], v[46:47] offset0:156 offset1:234
	ds_store_2addr_b64 v50, v[34:35], v[24:25] offset0:56 offset1:134
	;; [unrolled: 1-line block ×4, first 2 shown]
	global_wb scope:SCOPE_SE
	s_wait_dscnt 0x0
	s_barrier_signal -1
	s_barrier_wait -1
	global_inv scope:SCOPE_SE
	s_and_saveexec_b32 s0, vcc_lo
	s_cbranch_execz .LBB0_30
; %bb.29:
	v_dual_mov_b32 v63, v17 :: v_dual_add_nc_u32 v16, 0x800, v78
	v_add_nc_u32_e32 v46, 0x1000, v78
	v_add_nc_u32_e32 v75, 0x4e, v62
	;; [unrolled: 1-line block ×3, first 2 shown]
	s_delay_alu instid0(VALU_DEP_4)
	v_lshlrev_b64_e32 v[22:23], 4, v[62:63]
	v_add_nc_u32_e32 v77, 0xea, v62
	v_mul_lo_u32 v65, s2, v65
	v_lshrrev_b32_e32 v74, 1, v62
	v_add_nc_u32_e32 v50, 0x400, v78
	v_add_co_u32 v38, vcc_lo, s8, v22
	s_wait_alu 0xfffd
	v_add_co_ci_u32_e32 v39, vcc_lo, s9, v23, vcc_lo
	v_mul_hi_u32 v74, 0xa80a80a9, v74
	s_clause 0x4
	global_load_b128 v[22:25], v[38:39], off offset:11200
	global_load_b128 v[26:29], v[38:39], off offset:9952
	;; [unrolled: 1-line block ×5, first 2 shown]
	ds_load_b64 v[54:55], v78 offset:5616
	ds_load_2addr_b64 v[42:45], v16 offset0:134 offset1:212
	ds_load_2addr_b64 v[46:49], v46 offset0:34 offset1:112
	ds_load_b64 v[56:57], v79
	v_add_nc_u32_e32 v79, 0x138, v62
	v_mul_lo_u32 v16, s3, v64
	v_mad_co_u64_u32 v[63:64], null, s2, v64, 0
	ds_load_2addr_b64 v[50:53], v50 offset0:106 offset1:184
	v_add3_u32 v64, v64, v65, v16
	s_wait_loadcnt 0x4
	v_mul_f64_e32 v[58:59], v[20:21], v[24:25]
	s_wait_dscnt 0x4
	v_mul_f64_e32 v[24:25], v[54:55], v[24:25]
	s_wait_loadcnt 0x2
	v_mul_f64_e32 v[68:69], v[12:13], v[32:33]
	s_wait_dscnt 0x3
	v_mul_f64_e32 v[32:33], v[42:43], v[32:33]
	s_wait_loadcnt 0x1
	v_mul_f64_e32 v[70:71], v[14:15], v[36:37]
	v_mul_f64_e32 v[36:37], v[44:45], v[36:37]
	s_wait_loadcnt 0x0
	v_mul_f64_e32 v[72:73], v[8:9], v[40:41]
	s_wait_dscnt 0x2
	v_mul_f64_e32 v[40:41], v[46:47], v[40:41]
	v_mul_f64_e32 v[66:67], v[10:11], v[28:29]
	;; [unrolled: 1-line block ×3, first 2 shown]
	v_fma_f64 v[54:55], v[54:55], v[22:23], -v[58:59]
	v_fma_f64 v[20:21], v[20:21], v[22:23], v[24:25]
	v_fma_f64 v[24:25], v[42:43], v[30:31], -v[68:69]
	v_fma_f64 v[30:31], v[12:13], v[30:31], v[32:33]
	;; [unrolled: 2-line block ×5, first 2 shown]
	v_lshrrev_b32_e32 v8, 1, v75
	v_lshrrev_b32_e32 v9, 1, v76
	;; [unrolled: 1-line block ×5, first 2 shown]
	v_mul_hi_u32 v14, 0xa80a80a9, v8
	v_mul_hi_u32 v15, 0xa80a80a9, v9
	;; [unrolled: 1-line block ×4, first 2 shown]
	ds_load_2addr_b64 v[8:11], v78 offset0:78 offset1:156
	v_lshlrev_b64_e32 v[12:13], 4, v[63:64]
	v_mul_u32_u24_e32 v26, 0x186, v26
	v_lshlrev_b64_e32 v[42:43], 4, v[60:61]
	v_lshrrev_b32_e32 v44, 7, v14
	v_lshrrev_b32_e32 v45, 7, v15
	;; [unrolled: 1-line block ×3, first 2 shown]
	v_add_co_u32 v16, vcc_lo, s6, v12
	s_delay_alu instid0(VALU_DEP_4)
	v_mul_u32_u24_e32 v12, 0x186, v44
	v_lshrrev_b32_e32 v64, 7, v27
	v_sub_nc_u32_e32 v48, v62, v26
	s_wait_alu 0xfffd
	v_add_co_ci_u32_e32 v47, vcc_lo, s7, v13, vcc_lo
	v_sub_nc_u32_e32 v60, v75, v12
	v_mul_u32_u24_e32 v49, 0x186, v45
	v_add_co_u32 v65, vcc_lo, v16, v42
	s_wait_alu 0xfffd
	v_add_co_ci_u32_e32 v66, vcc_lo, v47, v43, vcc_lo
	v_add_f64_e64 v[12:13], v[6:7], -v[20:21]
	s_wait_dscnt 0x2
	v_add_f64_e64 v[26:27], v[56:57], -v[24:25]
	v_add_f64_e64 v[24:25], v[18:19], -v[30:31]
	s_wait_dscnt 0x0
	v_add_f64_e64 v[30:31], v[8:9], -v[32:33]
	v_add_f64_e64 v[28:29], v[0:1], -v[34:35]
	;; [unrolled: 1-line block ×7, first 2 shown]
	v_mad_u32_u24 v16, 0x30c, v44, v60
	v_lshlrev_b32_e32 v38, 4, v48
	v_sub_nc_u32_e32 v40, v76, v49
	v_mul_u32_u24_e32 v58, 0x186, v46
	v_mul_u32_u24_e32 v59, 0x186, v64
	v_lshlrev_b64_e32 v[36:37], 4, v[16:17]
	v_add_nc_u32_e32 v16, 0x186, v16
	v_add_co_u32 v48, vcc_lo, v65, v38
	v_sub_nc_u32_e32 v41, v77, v58
	v_sub_nc_u32_e32 v67, v79, v59
	s_delay_alu instid0(VALU_DEP_4) | instskip(SKIP_4) | instid1(VALU_DEP_3)
	v_lshlrev_b64_e32 v[38:39], 4, v[16:17]
	v_mad_u32_u24 v16, 0x30c, v45, v40
	s_wait_alu 0xfffd
	v_add_co_ci_u32_e32 v49, vcc_lo, 0, v66, vcc_lo
	v_add_co_u32 v54, vcc_lo, v65, v36
	v_lshlrev_b64_e32 v[58:59], 4, v[16:17]
	v_add_nc_u32_e32 v16, 0x186, v16
	s_wait_alu 0xfffd
	v_add_co_ci_u32_e32 v55, vcc_lo, v66, v37, vcc_lo
	v_add_co_u32 v60, vcc_lo, v65, v38
	s_delay_alu instid0(VALU_DEP_3)
	v_lshlrev_b64_e32 v[62:63], 4, v[16:17]
	v_mad_u32_u24 v16, 0x30c, v46, v41
	s_wait_alu 0xfffd
	v_add_co_ci_u32_e32 v61, vcc_lo, v66, v39, vcc_lo
	v_fma_f64 v[36:37], v[6:7], 2.0, -v[12:13]
	v_fma_f64 v[42:43], v[56:57], 2.0, -v[26:27]
	;; [unrolled: 1-line block ×10, first 2 shown]
	v_lshlrev_b64_e32 v[10:11], 4, v[16:17]
	v_add_nc_u32_e32 v16, 0x186, v16
	v_add_co_u32 v4, vcc_lo, v65, v58
	s_wait_alu 0xfffd
	v_add_co_ci_u32_e32 v5, vcc_lo, v66, v59, vcc_lo
	s_delay_alu instid0(VALU_DEP_3) | instskip(SKIP_4) | instid1(VALU_DEP_3)
	v_lshlrev_b64_e32 v[50:51], 4, v[16:17]
	v_mad_u32_u24 v16, 0x30c, v64, v67
	v_add_co_u32 v18, vcc_lo, v65, v62
	s_wait_alu 0xfffd
	v_add_co_ci_u32_e32 v19, vcc_lo, v66, v63, vcc_lo
	v_lshlrev_b64_e32 v[52:53], 4, v[16:17]
	v_add_nc_u32_e32 v16, 0x186, v16
	v_add_co_u32 v10, vcc_lo, v65, v10
	s_wait_alu 0xfffd
	v_add_co_ci_u32_e32 v11, vcc_lo, v66, v11, vcc_lo
	v_add_co_u32 v50, vcc_lo, v65, v50
	v_lshlrev_b64_e32 v[16:17], 4, v[16:17]
	s_wait_alu 0xfffd
	v_add_co_ci_u32_e32 v51, vcc_lo, v66, v51, vcc_lo
	v_add_co_u32 v52, vcc_lo, v65, v52
	s_wait_alu 0xfffd
	v_add_co_ci_u32_e32 v53, vcc_lo, v66, v53, vcc_lo
	v_add_co_u32 v16, vcc_lo, v65, v16
	s_wait_alu 0xfffd
	v_add_co_ci_u32_e32 v17, vcc_lo, v66, v17, vcc_lo
	s_clause 0x9
	global_store_b128 v[48:49], v[40:43], off
	global_store_b128 v[48:49], v[24:27], off offset:6240
	global_store_b128 v[54:55], v[6:9], off
	global_store_b128 v[60:61], v[28:31], off
	;; [unrolled: 1-line block ×8, first 2 shown]
.LBB0_30:
	s_nop 0
	s_sendmsg sendmsg(MSG_DEALLOC_VGPRS)
	s_endpgm
	.section	.rodata,"a",@progbits
	.p2align	6, 0x0
	.amdhsa_kernel fft_rtc_back_len780_factors_2_3_13_5_2_wgs_234_tpt_78_halfLds_dp_op_CI_CI_unitstride_sbrr_dirReg
		.amdhsa_group_segment_fixed_size 0
		.amdhsa_private_segment_fixed_size 0
		.amdhsa_kernarg_size 104
		.amdhsa_user_sgpr_count 2
		.amdhsa_user_sgpr_dispatch_ptr 0
		.amdhsa_user_sgpr_queue_ptr 0
		.amdhsa_user_sgpr_kernarg_segment_ptr 1
		.amdhsa_user_sgpr_dispatch_id 0
		.amdhsa_user_sgpr_private_segment_size 0
		.amdhsa_wavefront_size32 1
		.amdhsa_uses_dynamic_stack 0
		.amdhsa_enable_private_segment 0
		.amdhsa_system_sgpr_workgroup_id_x 1
		.amdhsa_system_sgpr_workgroup_id_y 0
		.amdhsa_system_sgpr_workgroup_id_z 0
		.amdhsa_system_sgpr_workgroup_info 0
		.amdhsa_system_vgpr_workitem_id 0
		.amdhsa_next_free_vgpr 158
		.amdhsa_next_free_sgpr 44
		.amdhsa_reserve_vcc 1
		.amdhsa_float_round_mode_32 0
		.amdhsa_float_round_mode_16_64 0
		.amdhsa_float_denorm_mode_32 3
		.amdhsa_float_denorm_mode_16_64 3
		.amdhsa_fp16_overflow 0
		.amdhsa_workgroup_processor_mode 1
		.amdhsa_memory_ordered 1
		.amdhsa_forward_progress 0
		.amdhsa_round_robin_scheduling 0
		.amdhsa_exception_fp_ieee_invalid_op 0
		.amdhsa_exception_fp_denorm_src 0
		.amdhsa_exception_fp_ieee_div_zero 0
		.amdhsa_exception_fp_ieee_overflow 0
		.amdhsa_exception_fp_ieee_underflow 0
		.amdhsa_exception_fp_ieee_inexact 0
		.amdhsa_exception_int_div_zero 0
	.end_amdhsa_kernel
	.text
.Lfunc_end0:
	.size	fft_rtc_back_len780_factors_2_3_13_5_2_wgs_234_tpt_78_halfLds_dp_op_CI_CI_unitstride_sbrr_dirReg, .Lfunc_end0-fft_rtc_back_len780_factors_2_3_13_5_2_wgs_234_tpt_78_halfLds_dp_op_CI_CI_unitstride_sbrr_dirReg
                                        ; -- End function
	.section	.AMDGPU.csdata,"",@progbits
; Kernel info:
; codeLenInByte = 10016
; NumSgprs: 46
; NumVgprs: 158
; ScratchSize: 0
; MemoryBound: 1
; FloatMode: 240
; IeeeMode: 1
; LDSByteSize: 0 bytes/workgroup (compile time only)
; SGPRBlocks: 5
; VGPRBlocks: 19
; NumSGPRsForWavesPerEU: 46
; NumVGPRsForWavesPerEU: 158
; Occupancy: 9
; WaveLimiterHint : 1
; COMPUTE_PGM_RSRC2:SCRATCH_EN: 0
; COMPUTE_PGM_RSRC2:USER_SGPR: 2
; COMPUTE_PGM_RSRC2:TRAP_HANDLER: 0
; COMPUTE_PGM_RSRC2:TGID_X_EN: 1
; COMPUTE_PGM_RSRC2:TGID_Y_EN: 0
; COMPUTE_PGM_RSRC2:TGID_Z_EN: 0
; COMPUTE_PGM_RSRC2:TIDIG_COMP_CNT: 0
	.text
	.p2alignl 7, 3214868480
	.fill 96, 4, 3214868480
	.type	__hip_cuid_f5b268559bd45369,@object ; @__hip_cuid_f5b268559bd45369
	.section	.bss,"aw",@nobits
	.globl	__hip_cuid_f5b268559bd45369
__hip_cuid_f5b268559bd45369:
	.byte	0                               ; 0x0
	.size	__hip_cuid_f5b268559bd45369, 1

	.ident	"AMD clang version 19.0.0git (https://github.com/RadeonOpenCompute/llvm-project roc-6.4.0 25133 c7fe45cf4b819c5991fe208aaa96edf142730f1d)"
	.section	".note.GNU-stack","",@progbits
	.addrsig
	.addrsig_sym __hip_cuid_f5b268559bd45369
	.amdgpu_metadata
---
amdhsa.kernels:
  - .args:
      - .actual_access:  read_only
        .address_space:  global
        .offset:         0
        .size:           8
        .value_kind:     global_buffer
      - .offset:         8
        .size:           8
        .value_kind:     by_value
      - .actual_access:  read_only
        .address_space:  global
        .offset:         16
        .size:           8
        .value_kind:     global_buffer
      - .actual_access:  read_only
        .address_space:  global
        .offset:         24
        .size:           8
        .value_kind:     global_buffer
      - .actual_access:  read_only
        .address_space:  global
        .offset:         32
        .size:           8
        .value_kind:     global_buffer
      - .offset:         40
        .size:           8
        .value_kind:     by_value
      - .actual_access:  read_only
        .address_space:  global
        .offset:         48
        .size:           8
        .value_kind:     global_buffer
      - .actual_access:  read_only
        .address_space:  global
        .offset:         56
        .size:           8
        .value_kind:     global_buffer
      - .offset:         64
        .size:           4
        .value_kind:     by_value
      - .actual_access:  read_only
        .address_space:  global
        .offset:         72
        .size:           8
        .value_kind:     global_buffer
      - .actual_access:  read_only
        .address_space:  global
        .offset:         80
        .size:           8
        .value_kind:     global_buffer
      - .actual_access:  read_only
        .address_space:  global
        .offset:         88
        .size:           8
        .value_kind:     global_buffer
      - .actual_access:  write_only
        .address_space:  global
        .offset:         96
        .size:           8
        .value_kind:     global_buffer
    .group_segment_fixed_size: 0
    .kernarg_segment_align: 8
    .kernarg_segment_size: 104
    .language:       OpenCL C
    .language_version:
      - 2
      - 0
    .max_flat_workgroup_size: 234
    .name:           fft_rtc_back_len780_factors_2_3_13_5_2_wgs_234_tpt_78_halfLds_dp_op_CI_CI_unitstride_sbrr_dirReg
    .private_segment_fixed_size: 0
    .sgpr_count:     46
    .sgpr_spill_count: 0
    .symbol:         fft_rtc_back_len780_factors_2_3_13_5_2_wgs_234_tpt_78_halfLds_dp_op_CI_CI_unitstride_sbrr_dirReg.kd
    .uniform_work_group_size: 1
    .uses_dynamic_stack: false
    .vgpr_count:     158
    .vgpr_spill_count: 0
    .wavefront_size: 32
    .workgroup_processor_mode: 1
amdhsa.target:   amdgcn-amd-amdhsa--gfx1201
amdhsa.version:
  - 1
  - 2
...

	.end_amdgpu_metadata
